;; amdgpu-corpus repo=zjin-lcf/HeCBench kind=compiled arch=gfx906 opt=O3
	.amdgcn_target "amdgcn-amd-amdhsa--gfx906"
	.amdhsa_code_object_version 6
	.text
	.protected	_Z6lookupPKiPKdS0_PK16NuclideGridPointPiS2_S0_illiii ; -- Begin function _Z6lookupPKiPKdS0_PK16NuclideGridPointPiS2_S0_illiii
	.globl	_Z6lookupPKiPKdS0_PK16NuclideGridPointPiS2_S0_illiii
	.p2align	8
	.type	_Z6lookupPKiPKdS0_PK16NuclideGridPointPiS2_S0_illiii,@function
_Z6lookupPKiPKdS0_PK16NuclideGridPointPiS2_S0_illiii: ; @_Z6lookupPKiPKdS0_PK16NuclideGridPointPiS2_S0_illiii
; %bb.0:
	s_load_dword s0, s[4:5], 0x6c
	s_load_dword s1, s[4:5], 0x38
	s_waitcnt lgkmcnt(0)
	s_and_b32 s0, s0, 0xffff
	s_mul_i32 s6, s6, s0
	v_add_u32_e32 v0, s6, v0
	v_cmp_gt_i32_e32 vcc, s1, v0
	s_and_saveexec_b64 s[0:1], vcc
	s_cbranch_execz .LBB0_78
; %bb.1:
	s_load_dwordx8 s[8:15], s[4:5], 0x0
	s_load_dwordx4 s[24:27], s[4:5], 0x20
	s_load_dwordx2 s[0:1], s[4:5], 0x30
	v_cmp_ne_u32_e32 vcc, 0, v0
	v_mov_b32_e32 v1, 0x4a2bcaa7
	v_mov_b32_e32 v4, 0x45df23cb
	s_and_saveexec_b64 s[2:3], vcc
	s_cbranch_execz .LBB0_7
; %bb.2:
	v_lshlrev_b32_e32 v3, 1, v0
	v_ashrrev_i32_e32 v1, 31, v3
	v_and_b32_e32 v4, 0x7fffffff, v1
	v_mov_b32_e32 v1, 1
	v_mov_b32_e32 v5, 0
	;; [unrolled: 1-line block ×3, first 2 shown]
	s_mov_b64 s[6:7], 0
	s_mov_b32 s21, 0x26f19d38
	s_mov_b32 s20, 0xe48e2825
	v_mov_b32_e32 v6, 0
	s_mov_b64 s[16:17], 1
	s_branch .LBB0_4
.LBB0_3:                                ;   in Loop: Header=BB0_4 Depth=1
	s_or_b64 exec, exec, s[18:19]
	s_add_u32 s18, s20, 1
	s_addc_u32 s19, s21, 0
	s_mul_i32 s17, s18, s17
	s_mul_hi_u32 s22, s18, s16
	s_add_i32 s17, s22, s17
	s_mul_i32 s19, s19, s16
	s_add_i32 s17, s17, s19
	s_mul_i32 s16, s18, s16
	s_mul_i32 s18, s20, s21
	s_mul_hi_u32 s19, s20, s20
	s_add_i32 s19, s19, s18
	v_cmp_gt_u64_e32 vcc, 2, v[3:4]
	s_add_i32 s21, s19, s18
	v_lshrrev_b64 v[3:4], 1, v[3:4]
	s_mul_i32 s20, s20, s20
	s_or_b64 s[6:7], vcc, s[6:7]
	s_andn2_b64 exec, exec, s[6:7]
	s_cbranch_execz .LBB0_6
.LBB0_4:                                ; =>This Inner Loop Header: Depth=1
	v_and_b32_e32 v7, 1, v3
	v_cmp_eq_u32_e32 vcc, 1, v7
	s_and_saveexec_b64 s[18:19], vcc
	s_cbranch_execz .LBB0_3
; %bb.5:                                ;   in Loop: Header=BB0_4 Depth=1
	v_mov_b32_e32 v7, s16
	v_mov_b32_e32 v8, s17
	v_mad_u64_u32 v[7:8], s[22:23], s20, v5, v[7:8]
	v_mul_lo_u32 v6, s20, v6
	v_mul_lo_u32 v5, s21, v5
	;; [unrolled: 1-line block ×4, first 2 shown]
	v_mad_u64_u32 v[1:2], s[22:23], s20, v1, 0
	v_add3_u32 v8, v5, v8, v6
	v_mov_b32_e32 v5, v7
	v_add3_u32 v2, v2, v10, v9
	v_mov_b32_e32 v6, v8
	s_branch .LBB0_3
.LBB0_6:
	s_or_b64 exec, exec, s[6:7]
	s_movk_i32 s16, 0x42e
	v_mad_u64_u32 v[3:4], s[6:7], v1, s16, v[5:6]
	v_mov_b32_e32 v1, v4
	v_mad_u64_u32 v[1:2], s[6:7], v2, s16, v[1:2]
	s_mov_b32 s6, 0x26f19d38
	s_mov_b32 s7, 0xe48e2825
	v_mul_lo_u32 v4, v3, s6
	v_mul_lo_u32 v5, v1, s7
	v_mad_u64_u32 v[1:2], s[6:7], v3, s7, 1
	v_add3_u32 v2, v5, v2, v4
	v_and_b32_e32 v4, 0x7fffffff, v2
.LBB0_7:
	s_or_b64 exec, exec, s[2:3]
	s_mov_b32 s6, 0xe48e2825
	v_mad_u64_u32 v[2:3], s[2:3], v1, s6, 1
	s_mov_b32 s2, 0x26f19d38
	v_mul_lo_u32 v5, v1, s2
	v_mul_lo_u32 v6, v4, s6
	s_movk_i32 s2, 0xffc1
	v_mov_b32_e32 v15, 1
	v_add3_u32 v3, v6, v3, v5
	v_and_b32_e32 v3, 0x7fffffff, v3
	v_cvt_f64_u32_e32 v[5:6], v3
	v_cvt_f64_u32_e32 v[2:3], v2
	v_ldexp_f64 v[5:6], v[5:6], 32
	v_add_f64 v[2:3], v[5:6], v[2:3]
	v_ldexp_f64 v[2:3], v[2:3], s2
	s_mov_b32 s2, 0x76c8b439
	s_mov_b32 s3, 0x3faa9fbe
	v_cmp_ngt_f64_e32 vcc, s[2:3], v[2:3]
	s_and_saveexec_b64 s[2:3], vcc
	s_cbranch_execz .LBB0_29
; %bb.8:
	s_mov_b32 s6, 0x6872b021
	s_mov_b32 s7, 0x3fd4ed91
	v_cmp_ngt_f64_e32 vcc, s[6:7], v[2:3]
	v_mov_b32_e32 v15, 2
	s_and_saveexec_b64 s[6:7], vcc
	s_cbranch_execz .LBB0_28
; %bb.9:
	s_mov_b32 s16, 0x24dd2f1b
	s_mov_b32 s17, 0x3fdd8106
	v_cmp_ngt_f64_e32 vcc, s[16:17], v[2:3]
	v_mov_b32_e32 v15, 3
	;; [unrolled: 7-line block ×10, first 2 shown]
	s_and_saveexec_b64 s[38:39], vcc
; %bb.18:
	v_mov_b32_e32 v15, 0
; %bb.19:
	s_or_b64 exec, exec, s[38:39]
.LBB0_20:
	s_or_b64 exec, exec, s[36:37]
.LBB0_21:
	s_or_b64 exec, exec, s[34:35]
.LBB0_22:
	s_or_b64 exec, exec, s[30:31]
.LBB0_23:
	s_or_b64 exec, exec, s[28:29]
.LBB0_24:
	s_or_b64 exec, exec, s[22:23]
.LBB0_25:
	s_or_b64 exec, exec, s[20:21]
.LBB0_26:
	s_or_b64 exec, exec, s[18:19]
.LBB0_27:
	s_or_b64 exec, exec, s[16:17]
.LBB0_28:
	s_or_b64 exec, exec, s[6:7]
.LBB0_29:
	s_or_b64 exec, exec, s[2:3]
	v_cvt_f64_u32_e32 v[2:3], v4
	v_cvt_f64_u32_e32 v[4:5], v1
	s_movk_i32 s2, 0xffc1
	s_load_dwordx8 s[16:23], s[4:5], 0x40
	v_ldexp_f64 v[2:3], v[2:3], 32
	s_waitcnt lgkmcnt(0)
	s_cmp_lt_i32 s20, 2
	v_add_f64 v[1:2], v[2:3], v[4:5]
	v_ldexp_f64 v[1:2], v[1:2], s2
	s_cbranch_scc1 .LBB0_33
; %bb.30:
	v_mov_b32_e32 v13, -1
	v_mov_b32_e32 v14, -1
	s_cmp_eq_u32 s20, 2
	s_cbranch_scc0 .LBB0_32
; %bb.31:
	v_cvt_f64_i32_e32 v[3:4], s21
	v_div_scale_f64 v[5:6], s[2:3], v[3:4], v[3:4], 1.0
	v_rcp_f64_e32 v[7:8], v[5:6]
	v_fma_f64 v[9:10], -v[5:6], v[7:8], 1.0
	v_fma_f64 v[7:8], v[7:8], v[9:10], v[7:8]
	v_div_scale_f64 v[9:10], vcc, 1.0, v[3:4], 1.0
	v_fma_f64 v[11:12], -v[5:6], v[7:8], 1.0
	v_fma_f64 v[7:8], v[7:8], v[11:12], v[7:8]
	v_mul_f64 v[11:12], v[9:10], v[7:8]
	v_fma_f64 v[5:6], -v[5:6], v[11:12], v[9:10]
	v_div_fmas_f64 v[5:6], v[5:6], v[7:8], v[11:12]
	v_div_fixup_f64 v[3:4], v[5:6], v[3:4], 1.0
	v_div_scale_f64 v[5:6], s[2:3], v[3:4], v[3:4], v[1:2]
	s_movk_i32 s2, 0xffe0
	v_rcp_f64_e32 v[7:8], v[5:6]
	v_fma_f64 v[9:10], -v[5:6], v[7:8], 1.0
	v_fma_f64 v[7:8], v[7:8], v[9:10], v[7:8]
	v_div_scale_f64 v[9:10], vcc, v[1:2], v[3:4], v[1:2]
	v_fma_f64 v[11:12], -v[5:6], v[7:8], 1.0
	v_fma_f64 v[7:8], v[7:8], v[11:12], v[7:8]
	v_mul_f64 v[11:12], v[9:10], v[7:8]
	v_fma_f64 v[5:6], -v[5:6], v[11:12], v[9:10]
	v_div_fmas_f64 v[5:6], v[5:6], v[7:8], v[11:12]
	v_div_fixup_f64 v[3:4], v[5:6], v[3:4], v[1:2]
	v_trunc_f64_e32 v[3:4], v[3:4]
	v_ldexp_f64 v[5:6], v[3:4], s2
	s_mov_b32 s2, 0
	s_mov_b32 s3, 0xc1f00000
	v_floor_f64_e32 v[5:6], v[5:6]
	v_fma_f64 v[3:4], v[5:6], s[2:3], v[3:4]
	v_cvt_i32_f64_e32 v14, v[5:6]
	v_cvt_u32_f64_e32 v13, v[3:4]
.LBB0_32:
	s_cbranch_execz .LBB0_34
	s_branch .LBB0_39
.LBB0_33:
                                        ; implicit-def: $vgpr13_vgpr14
.LBB0_34:
	v_mov_b32_e32 v13, -1
	v_mov_b32_e32 v14, -1
	s_cmp_lg_u32 s20, 0
	s_cbranch_scc1 .LBB0_39
; %bb.35:
	s_mul_i32 s2, s18, s17
	s_mul_hi_u32 s3, s18, s16
	s_add_i32 s2, s3, s2
	s_mul_i32 s3, s19, s16
	s_add_i32 s3, s2, s3
	s_mul_i32 s2, s18, s16
	v_cmp_lt_i64_e64 s[4:5], s[2:3], 3
	v_mov_b32_e32 v13, 0
	v_mov_b32_e32 v14, 0
	s_and_b64 vcc, exec, s[4:5]
	s_cbranch_vccnz .LBB0_39
; %bb.36:
	s_add_u32 s4, s2, -1
	s_addc_u32 s5, s3, -1
	v_mov_b32_e32 v6, s5
	v_mov_b32_e32 v13, 0
	;; [unrolled: 1-line block ×3, first 2 shown]
	s_mov_b64 s[2:3], 0
	v_mov_b32_e32 v5, s4
	v_mov_b32_e32 v14, 0
	;; [unrolled: 1-line block ×4, first 2 shown]
.LBB0_37:                               ; =>This Inner Loop Header: Depth=1
	v_lshrrev_b64 v[5:6], 1, v[5:6]
	v_add_co_u32_e32 v5, vcc, v5, v13
	v_addc_co_u32_e32 v6, vcc, v6, v14, vcc
	v_lshlrev_b64 v[8:9], 3, v[5:6]
	v_add_co_u32_e32 v8, vcc, s26, v8
	v_addc_co_u32_e32 v9, vcc, v7, v9, vcc
	global_load_dwordx2 v[8:9], v[8:9], off
	s_waitcnt vmcnt(0)
	v_cmp_gt_f64_e32 vcc, v[8:9], v[1:2]
	v_cndmask_b32_e32 v3, v3, v5, vcc
	v_cndmask_b32_e32 v13, v5, v13, vcc
	;; [unrolled: 1-line block ×4, first 2 shown]
	v_sub_co_u32_e32 v5, vcc, v3, v13
	v_subb_co_u32_e32 v6, vcc, v4, v14, vcc
	v_cmp_gt_i64_e32 vcc, 2, v[5:6]
	s_or_b64 s[2:3], vcc, s[2:3]
	s_andn2_b64 exec, exec, s[2:3]
	s_cbranch_execnz .LBB0_37
; %bb.38:
	s_or_b64 exec, exec, s[2:3]
.LBB0_39:
	v_lshlrev_b32_e32 v3, 2, v15
	global_load_dword v31, v3, s[8:9]
	v_mov_b32_e32 v3, 0
	v_mov_b32_e32 v5, 0
	;; [unrolled: 1-line block ×5, first 2 shown]
	s_mov_b32 s30, 0
	v_mov_b32_e32 v4, 0
	v_mov_b32_e32 v6, 0
	;; [unrolled: 1-line block ×5, first 2 shown]
	s_waitcnt vmcnt(0)
	v_cmp_lt_i32_e32 vcc, 0, v31
	s_and_saveexec_b64 s[6:7], vcc
	s_cbranch_execz .LBB0_77
; %bb.40:
	v_mul_lo_u32 v5, v14, s16
	v_mul_lo_u32 v6, v13, s17
	v_mad_u64_u32 v[3:4], s[2:3], v13, s16, 0
	s_add_u32 s8, s18, -1
	v_mul_lo_u32 v32, v15, s22
	v_add3_u32 v4, v4, v6, v5
	v_lshlrev_b64 v[3:4], 2, v[3:4]
	v_mov_b32_e32 v5, s1
	v_add_co_u32_e32 v33, vcc, s0, v3
	v_addc_co_u32_e32 v34, vcc, v5, v4, vcc
	s_addc_u32 s9, s19, -1
	s_add_i32 s0, s21, -1
	s_lshl_b64 s[2:3], s[16:17], 2
	s_ashr_i32 s1, s0, 31
	v_mov_b32_e32 v3, s3
	v_add_co_u32_e32 v35, vcc, s2, v33
	s_add_i32 s21, s18, -1
	v_cmp_gt_i64_e64 s[22:23], s[8:9], 1
	v_cmp_ne_u64_e64 s[0:1], s[0:1], v[13:14]
	v_addc_co_u32_e32 v36, vcc, v34, v3, vcc
	s_add_u32 s31, s18, -2
	v_mov_b32_e32 v3, 0
	v_mov_b32_e32 v5, 0
	;; [unrolled: 1-line block ×5, first 2 shown]
	s_addc_u32 s33, s19, -1
	v_mov_b32_e32 v4, 0
	s_mov_b64 s[16:17], 0
	v_mov_b32_e32 v37, s13
	v_mov_b32_e32 v38, s11
	;; [unrolled: 1-line block ×7, first 2 shown]
	s_branch .LBB0_43
.LBB0_41:                               ;   in Loop: Header=BB0_43 Depth=1
	s_or_b64 exec, exec, s[2:3]
.LBB0_42:                               ;   in Loop: Header=BB0_43 Depth=1
	v_mad_u64_u32 v[29:30], s[2:3], v21, 48, s[14:15]
	s_add_i32 s30, s30, 1
	v_mov_b32_e32 v14, v30
	s_waitcnt vmcnt(0)
	v_mad_u64_u32 v[17:18], s[2:3], v22, 48, v[14:15]
	v_mov_b32_e32 v30, v17
	global_load_dwordx4 v[17:20], v[29:30], off offset:48
	global_load_dwordx4 v[21:24], v[29:30], off
	global_load_dwordx4 v[25:28], v[29:30], off offset:32
	global_load_dwordx4 v[39:42], v[29:30], off offset:16
	s_waitcnt vmcnt(3)
	v_add_f64 v[47:48], v[17:18], -v[1:2]
	s_waitcnt vmcnt(2)
	v_add_f64 v[17:18], v[17:18], -v[21:22]
	v_add_f64 v[51:52], v[19:20], -v[23:24]
	v_div_scale_f64 v[21:22], s[2:3], v[17:18], v[17:18], v[47:48]
	v_rcp_f64_e32 v[43:44], v[21:22]
	v_fma_f64 v[45:46], -v[21:22], v[43:44], 1.0
	v_fma_f64 v[43:44], v[43:44], v[45:46], v[43:44]
	v_fma_f64 v[45:46], -v[21:22], v[43:44], 1.0
	v_fma_f64 v[43:44], v[43:44], v[45:46], v[43:44]
	v_div_scale_f64 v[45:46], vcc, v[47:48], v[17:18], v[47:48]
	v_mul_f64 v[49:50], v[45:46], v[43:44]
	v_fma_f64 v[21:22], -v[21:22], v[49:50], v[45:46]
	s_nop 1
	v_div_fmas_f64 v[49:50], v[21:22], v[43:44], v[49:50]
	global_load_dwordx4 v[43:46], v[29:30], off offset:64
	global_load_dwordx4 v[21:24], v[29:30], off offset:80
	v_cmp_eq_u32_e32 vcc, s30, v31
	s_or_b64 s[16:17], vcc, s[16:17]
	v_div_fixup_f64 v[17:18], v[49:50], v[17:18], v[47:48]
	v_fma_f64 v[19:20], -v[17:18], v[51:52], v[19:20]
	v_fma_f64 v[11:12], v[15:16], v[19:20], v[11:12]
	s_waitcnt vmcnt(1)
	v_add_f64 v[29:30], v[43:44], -v[39:40]
	v_add_f64 v[39:40], v[45:46], -v[41:42]
	s_waitcnt vmcnt(0)
	v_add_f64 v[25:26], v[21:22], -v[25:26]
	v_add_f64 v[27:28], v[23:24], -v[27:28]
	v_fma_f64 v[29:30], -v[17:18], v[29:30], v[43:44]
	v_fma_f64 v[39:40], -v[17:18], v[39:40], v[45:46]
	;; [unrolled: 1-line block ×4, first 2 shown]
	v_fma_f64 v[9:10], v[15:16], v[29:30], v[9:10]
	v_fma_f64 v[7:8], v[15:16], v[39:40], v[7:8]
	;; [unrolled: 1-line block ×4, first 2 shown]
	s_andn2_b64 exec, exec, s[16:17]
	s_cbranch_execz .LBB0_76
.LBB0_43:                               ; =>This Loop Header: Depth=1
                                        ;     Child Loop BB0_50 Depth 2
                                        ;     Child Loop BB0_63 Depth 2
	v_add_u32_e32 v14, s30, v32
	v_ashrrev_i32_e32 v15, 31, v14
	v_lshlrev_b64 v[16:17], 2, v[14:15]
	v_lshlrev_b64 v[14:15], 3, v[14:15]
	v_add_co_u32_e32 v16, vcc, s12, v16
	v_addc_co_u32_e32 v17, vcc, v37, v17, vcc
	v_add_co_u32_e32 v14, vcc, s10, v14
	global_load_dword v17, v[16:17], off
	v_addc_co_u32_e32 v15, vcc, v38, v15, vcc
	global_load_dwordx2 v[15:16], v[14:15], off
	s_mov_b64 s[26:27], -1
	s_mov_b64 s[2:3], 0
	s_cmp_lt_i32 s20, 1
	s_mov_b64 s[4:5], 0
                                        ; implicit-def: $vgpr21_vgpr22
	s_waitcnt vmcnt(1)
	v_ashrrev_i32_e32 v18, 31, v17
	s_cbranch_scc0 .LBB0_47
; %bb.44:                               ;   in Loop: Header=BB0_43 Depth=1
	s_and_b64 vcc, exec, s[26:27]
	s_cbranch_vccnz .LBB0_54
.LBB0_45:                               ;   in Loop: Header=BB0_43 Depth=1
	v_lshlrev_b64 v[19:20], 2, v[17:18]
	s_andn2_b64 vcc, exec, s[4:5]
	s_cbranch_vccz .LBB0_55
.LBB0_46:                               ;   in Loop: Header=BB0_43 Depth=1
	s_and_b64 vcc, exec, s[2:3]
	s_cbranch_vccz .LBB0_42
	s_branch .LBB0_72
.LBB0_47:                               ;   in Loop: Header=BB0_43 Depth=1
	s_cmp_eq_u32 s20, 1
	s_mov_b64 s[4:5], -1
                                        ; implicit-def: $vgpr21_vgpr22
	s_cbranch_scc0 .LBB0_53
; %bb.48:                               ;   in Loop: Header=BB0_43 Depth=1
	v_mul_lo_u32 v14, s19, v17
	v_mul_lo_u32 v21, s18, v18
	v_mad_u64_u32 v[19:20], s[4:5], s18, v17, 0
	s_andn2_b64 vcc, exec, s[22:23]
	v_add3_u32 v20, v20, v21, v14
	s_cbranch_vccnz .LBB0_52
; %bb.49:                               ;   in Loop: Header=BB0_43 Depth=1
	v_mov_b32_e32 v21, s9
	v_add_co_u32_e32 v14, vcc, s8, v19
	v_addc_co_u32_e32 v23, vcc, v20, v21, vcc
	v_mov_b32_e32 v22, s9
	s_mov_b64 s[4:5], 0
	v_mov_b32_e32 v21, s8
.LBB0_50:                               ;   Parent Loop BB0_43 Depth=1
                                        ; =>  This Inner Loop Header: Depth=2
	v_lshrrev_b64 v[21:22], 1, v[21:22]
	v_add_co_u32_e32 v26, vcc, v21, v19
	v_addc_co_u32_e32 v27, vcc, v22, v20, vcc
	v_mad_u64_u32 v[21:22], s[26:27], v26, 48, s[14:15]
	v_mad_u64_u32 v[24:25], s[26:27], v27, 48, v[22:23]
	v_mov_b32_e32 v22, v24
	global_load_dwordx2 v[21:22], v[21:22], off
	s_waitcnt vmcnt(0)
	v_cmp_gt_f64_e32 vcc, v[21:22], v[1:2]
	v_cndmask_b32_e32 v14, v14, v26, vcc
	v_cndmask_b32_e32 v19, v26, v19, vcc
	;; [unrolled: 1-line block ×4, first 2 shown]
	v_sub_co_u32_e32 v21, vcc, v14, v19
	v_subb_co_u32_e32 v22, vcc, v23, v20, vcc
	v_cmp_gt_i64_e32 vcc, 2, v[21:22]
	s_or_b64 s[4:5], vcc, s[4:5]
	s_andn2_b64 exec, exec, s[4:5]
	s_cbranch_execnz .LBB0_50
; %bb.51:                               ;   in Loop: Header=BB0_43 Depth=1
	s_or_b64 exec, exec, s[4:5]
.LBB0_52:                               ;   in Loop: Header=BB0_43 Depth=1
	v_cmp_eq_u64_e32 vcc, s[8:9], v[19:20]
	s_mov_b64 s[4:5], 0
	v_cndmask_b32_e64 v14, 0, 1, vcc
	v_sub_co_u32_e32 v21, vcc, v19, v14
	v_subbrev_co_u32_e32 v22, vcc, 0, v20, vcc
.LBB0_53:                               ;   in Loop: Header=BB0_43 Depth=1
	s_branch .LBB0_45
.LBB0_54:                               ;   in Loop: Header=BB0_43 Depth=1
	s_cmp_lg_u32 s20, 0
	s_mov_b64 s[2:3], -1
	s_cselect_b64 s[4:5], -1, 0
	v_lshlrev_b64 v[19:20], 2, v[17:18]
	s_andn2_b64 vcc, exec, s[4:5]
	s_cbranch_vccnz .LBB0_46
.LBB0_55:                               ;   in Loop: Header=BB0_43 Depth=1
	v_add_co_u32_e32 v21, vcc, v33, v19
	v_addc_co_u32_e32 v22, vcc, v34, v20, vcc
	global_load_dword v27, v[21:22], off
	v_mov_b32_e32 v29, s21
	s_and_saveexec_b64 s[2:3], s[0:1]
	s_cbranch_execz .LBB0_57
; %bb.56:                               ;   in Loop: Header=BB0_43 Depth=1
	v_add_co_u32_e32 v21, vcc, v35, v19
	v_addc_co_u32_e32 v22, vcc, v36, v20, vcc
	global_load_dword v14, v[21:22], off
	s_waitcnt vmcnt(0)
	v_add_u32_e32 v29, 1, v14
.LBB0_57:                               ;   in Loop: Header=BB0_43 Depth=1
	s_or_b64 exec, exec, s[2:3]
	v_mul_lo_u32 v14, s19, v17
	v_mul_lo_u32 v23, s18, v18
	v_mad_u64_u32 v[21:22], s[2:3], s18, v17, 0
	s_waitcnt vmcnt(0)
	v_ashrrev_i32_e32 v28, 31, v27
	v_add3_u32 v22, v22, v23, v14
	v_add_co_u32_e32 v23, vcc, v21, v27
	v_mad_u64_u32 v[25:26], s[2:3], v23, 48, s[14:15]
	v_addc_co_u32_e32 v24, vcc, v22, v28, vcc
	v_mov_b32_e32 v14, v26
	v_mad_u64_u32 v[39:40], s[2:3], v24, 48, v[14:15]
	v_mov_b32_e32 v26, v39
	global_load_dwordx2 v[25:26], v[25:26], off
	s_waitcnt vmcnt(0)
	v_cmp_nle_f64_e32 vcc, v[1:2], v[25:26]
	s_and_saveexec_b64 s[2:3], vcc
	s_cbranch_execz .LBB0_67
; %bb.58:                               ;   in Loop: Header=BB0_43 Depth=1
	v_add_co_u32_e32 v25, vcc, v21, v29
	v_mad_u64_u32 v[39:40], s[4:5], v25, 48, s[14:15]
	v_ashrrev_i32_e32 v30, 31, v29
	v_addc_co_u32_e32 v26, vcc, v22, v30, vcc
	v_mov_b32_e32 v14, v40
	v_mad_u64_u32 v[40:41], s[4:5], v26, 48, v[14:15]
	global_load_dwordx2 v[39:40], v[39:40], off
	s_waitcnt vmcnt(0)
	v_cmp_ge_f64_e32 vcc, v[1:2], v[39:40]
	s_and_saveexec_b64 s[4:5], vcc
	s_xor_b64 s[4:5], exec, s[4:5]
; %bb.59:                               ;   in Loop: Header=BB0_43 Depth=1
	v_mov_b32_e32 v14, s9
	v_add_co_u32_e32 v23, vcc, s8, v21
	v_addc_co_u32_e32 v24, vcc, v22, v14, vcc
                                        ; implicit-def: $vgpr29_vgpr30
                                        ; implicit-def: $vgpr27_vgpr28
                                        ; implicit-def: $vgpr25_vgpr26
; %bb.60:                               ;   in Loop: Header=BB0_43 Depth=1
	s_andn2_saveexec_b64 s[4:5], s[4:5]
	s_cbranch_execz .LBB0_66
; %bb.61:                               ;   in Loop: Header=BB0_43 Depth=1
	v_sub_co_u32_e32 v21, vcc, v29, v27
	v_subb_co_u32_e32 v22, vcc, v30, v28, vcc
	v_cmp_lt_i64_e32 vcc, 1, v[21:22]
	s_and_saveexec_b64 s[26:27], vcc
	s_cbranch_execz .LBB0_65
; %bb.62:                               ;   in Loop: Header=BB0_43 Depth=1
	s_mov_b64 s[28:29], 0
.LBB0_63:                               ;   Parent Loop BB0_43 Depth=1
                                        ; =>  This Inner Loop Header: Depth=2
	v_lshrrev_b64 v[21:22], 1, v[21:22]
	v_add_co_u32_e32 v29, vcc, v21, v23
	v_addc_co_u32_e32 v30, vcc, v22, v24, vcc
	v_mad_u64_u32 v[21:22], s[34:35], v29, 48, s[14:15]
	v_mov_b32_e32 v14, v22
	v_mad_u64_u32 v[27:28], s[34:35], v30, 48, v[14:15]
	v_mov_b32_e32 v22, v27
	global_load_dwordx2 v[21:22], v[21:22], off
	s_waitcnt vmcnt(0)
	v_cmp_gt_f64_e32 vcc, v[21:22], v[1:2]
	v_cndmask_b32_e32 v25, v25, v29, vcc
	v_cndmask_b32_e32 v23, v29, v23, vcc
	;; [unrolled: 1-line block ×4, first 2 shown]
	v_sub_co_u32_e32 v21, vcc, v25, v23
	v_subb_co_u32_e32 v22, vcc, v26, v24, vcc
	v_cmp_gt_i64_e32 vcc, 2, v[21:22]
	s_or_b64 s[28:29], vcc, s[28:29]
	s_andn2_b64 exec, exec, s[28:29]
	s_cbranch_execnz .LBB0_63
; %bb.64:                               ;   in Loop: Header=BB0_43 Depth=1
	s_or_b64 exec, exec, s[28:29]
.LBB0_65:                               ;   in Loop: Header=BB0_43 Depth=1
	s_or_b64 exec, exec, s[26:27]
.LBB0_66:                               ;   in Loop: Header=BB0_43 Depth=1
	s_or_b64 exec, exec, s[4:5]
	v_mov_b32_e32 v21, v23
	v_mov_b32_e32 v22, v24
.LBB0_67:                               ;   in Loop: Header=BB0_43 Depth=1
	s_or_b64 exec, exec, s[2:3]
	v_or_b32_e32 v14, s19, v22
	v_cmp_ne_u64_e32 vcc, 0, v[13:14]
                                        ; implicit-def: $vgpr23_vgpr24
	s_and_saveexec_b64 s[2:3], vcc
	s_xor_b64 s[26:27], exec, s[2:3]
	s_cbranch_execz .LBB0_69
; %bb.68:                               ;   in Loop: Header=BB0_43 Depth=1
	s_ashr_i32 s2, s19, 31
	s_add_u32 s4, s18, s2
	s_mov_b32 s3, s2
	s_addc_u32 s5, s19, s2
	s_xor_b64 s[28:29], s[4:5], s[2:3]
	v_cvt_f32_u32_e32 v14, s28
	v_cvt_f32_u32_e32 v23, s29
	s_sub_u32 s4, 0, s28
	s_subb_u32 s5, 0, s29
	v_mac_f32_e32 v14, 0x4f800000, v23
	v_rcp_f32_e32 v14, v14
	v_mul_f32_e32 v14, 0x5f7ffffc, v14
	v_mul_f32_e32 v23, 0x2f800000, v14
	v_trunc_f32_e32 v23, v23
	v_mac_f32_e32 v14, 0xcf800000, v23
	v_cvt_u32_f32_e32 v23, v23
	v_cvt_u32_f32_e32 v14, v14
	v_readfirstlane_b32 s11, v23
	v_readfirstlane_b32 s2, v14
	s_mul_i32 s3, s4, s11
	s_mul_hi_u32 s34, s4, s2
	s_mul_i32 s13, s5, s2
	s_add_i32 s3, s34, s3
	s_add_i32 s3, s3, s13
	s_mul_i32 s35, s4, s2
	s_mul_i32 s34, s2, s3
	s_mul_hi_u32 s36, s2, s35
	s_mul_hi_u32 s13, s2, s3
	s_add_u32 s34, s36, s34
	s_addc_u32 s13, 0, s13
	s_mul_hi_u32 s37, s11, s35
	s_mul_i32 s35, s11, s35
	s_add_u32 s34, s34, s35
	s_mul_hi_u32 s36, s11, s3
	s_addc_u32 s13, s13, s37
	s_addc_u32 s34, s36, 0
	s_mul_i32 s3, s11, s3
	s_add_u32 s3, s13, s3
	s_addc_u32 s13, 0, s34
	s_add_u32 s34, s2, s3
	s_cselect_b64 s[2:3], -1, 0
	s_cmp_lg_u64 s[2:3], 0
	s_addc_u32 s11, s11, s13
	s_mul_i32 s2, s4, s11
	s_mul_hi_u32 s3, s4, s34
	s_add_i32 s2, s3, s2
	s_mul_i32 s5, s5, s34
	s_add_i32 s2, s2, s5
	s_mul_i32 s4, s4, s34
	s_mul_hi_u32 s5, s11, s4
	s_mul_i32 s13, s11, s4
	s_mul_i32 s36, s34, s2
	s_mul_hi_u32 s4, s34, s4
	s_mul_hi_u32 s35, s34, s2
	s_add_u32 s4, s4, s36
	s_addc_u32 s35, 0, s35
	s_add_u32 s4, s4, s13
	s_mul_hi_u32 s3, s11, s2
	s_addc_u32 s4, s35, s5
	s_addc_u32 s3, s3, 0
	s_mul_i32 s2, s11, s2
	s_add_u32 s2, s4, s2
	s_addc_u32 s4, 0, s3
	s_add_u32 s5, s34, s2
	s_cselect_b64 s[2:3], -1, 0
	v_ashrrev_i32_e32 v14, 31, v22
	s_cmp_lg_u64 s[2:3], 0
	v_add_co_u32_e32 v23, vcc, v21, v14
	s_addc_u32 s4, s11, s4
	v_xor_b32_e32 v27, v23, v14
	v_mad_u64_u32 v[23:24], s[2:3], v27, s4, 0
	v_mul_hi_u32 v26, v27, s5
	v_addc_co_u32_e32 v25, vcc, v22, v14, vcc
	v_xor_b32_e32 v28, v25, v14
	v_add_co_u32_e32 v29, vcc, v26, v23
	v_addc_co_u32_e32 v30, vcc, 0, v24, vcc
	v_mad_u64_u32 v[23:24], s[2:3], v28, s5, 0
	v_mad_u64_u32 v[25:26], s[2:3], v28, s4, 0
	v_add_co_u32_e32 v23, vcc, v29, v23
	v_addc_co_u32_e32 v23, vcc, v30, v24, vcc
	v_addc_co_u32_e32 v24, vcc, 0, v26, vcc
	v_add_co_u32_e32 v23, vcc, v23, v25
	v_addc_co_u32_e32 v24, vcc, 0, v24, vcc
	v_mul_lo_u32 v25, s29, v23
	v_mul_lo_u32 v26, s28, v24
	v_mad_u64_u32 v[23:24], s[2:3], s28, v23, 0
	v_add3_u32 v24, v24, v26, v25
	v_sub_u32_e32 v25, v28, v24
	v_mov_b32_e32 v26, s29
	v_sub_co_u32_e32 v23, vcc, v27, v23
	v_subb_co_u32_e64 v25, s[2:3], v25, v26, vcc
	v_subrev_co_u32_e64 v27, s[2:3], s28, v23
	v_subbrev_co_u32_e64 v29, s[4:5], 0, v25, s[2:3]
	v_cmp_le_u32_e64 s[4:5], s29, v29
	v_cndmask_b32_e64 v30, 0, -1, s[4:5]
	v_cmp_le_u32_e64 s[4:5], s28, v27
	v_subb_co_u32_e64 v25, s[2:3], v25, v26, s[2:3]
	v_cndmask_b32_e64 v39, 0, -1, s[4:5]
	v_cmp_eq_u32_e64 s[4:5], s29, v29
	v_subrev_co_u32_e64 v26, s[2:3], s28, v27
	v_subb_co_u32_e32 v24, vcc, v28, v24, vcc
	v_cndmask_b32_e64 v30, v30, v39, s[4:5]
	v_subbrev_co_u32_e64 v25, s[2:3], 0, v25, s[2:3]
	v_cmp_le_u32_e32 vcc, s29, v24
	v_cmp_ne_u32_e64 s[2:3], 0, v30
	v_cndmask_b32_e64 v28, 0, -1, vcc
	v_cmp_le_u32_e32 vcc, s28, v23
	v_cndmask_b32_e64 v25, v29, v25, s[2:3]
	v_cndmask_b32_e64 v29, 0, -1, vcc
	v_cmp_eq_u32_e32 vcc, s29, v24
	v_cndmask_b32_e32 v28, v28, v29, vcc
	v_cmp_ne_u32_e32 vcc, 0, v28
	v_cndmask_b32_e32 v24, v24, v25, vcc
	v_cndmask_b32_e64 v25, v27, v26, s[2:3]
	v_cndmask_b32_e32 v23, v23, v25, vcc
	v_xor_b32_e32 v23, v23, v14
	v_xor_b32_e32 v24, v24, v14
	v_sub_co_u32_e32 v23, vcc, v23, v14
	v_subb_co_u32_e32 v24, vcc, v24, v14, vcc
.LBB0_69:                               ;   in Loop: Header=BB0_43 Depth=1
	s_andn2_saveexec_b64 s[2:3], s[26:27]
	s_cbranch_execz .LBB0_71
; %bb.70:                               ;   in Loop: Header=BB0_43 Depth=1
	v_cvt_f32_u32_e32 v14, s18
	s_sub_i32 s4, 0, s18
	v_mov_b32_e32 v24, v13
	v_rcp_iflag_f32_e32 v14, v14
	v_mul_f32_e32 v14, 0x4f7ffffe, v14
	v_cvt_u32_f32_e32 v14, v14
	v_mul_lo_u32 v23, s4, v14
	v_mul_hi_u32 v23, v14, v23
	v_add_u32_e32 v14, v14, v23
	v_mul_hi_u32 v14, v21, v14
	v_mul_lo_u32 v14, v14, s18
	v_sub_u32_e32 v14, v21, v14
	v_subrev_u32_e32 v23, s18, v14
	v_cmp_le_u32_e32 vcc, s18, v14
	v_cndmask_b32_e32 v14, v14, v23, vcc
	v_subrev_u32_e32 v23, s18, v14
	v_cmp_le_u32_e32 vcc, s18, v14
	v_cndmask_b32_e32 v23, v14, v23, vcc
.LBB0_71:                               ;   in Loop: Header=BB0_43 Depth=1
	s_or_b64 exec, exec, s[2:3]
	v_cmp_eq_u64_e32 vcc, s[8:9], v[23:24]
	v_cndmask_b32_e64 v14, 0, 1, vcc
	v_sub_co_u32_e32 v21, vcc, v21, v14
	v_subbrev_co_u32_e32 v22, vcc, 0, v22, vcc
	s_branch .LBB0_42
.LBB0_72:                               ;   in Loop: Header=BB0_43 Depth=1
	v_add_co_u32_e32 v19, vcc, v33, v19
	v_addc_co_u32_e32 v20, vcc, v34, v20, vcc
	global_load_dword v19, v[19:20], off
	v_mul_lo_u32 v14, s19, v17
	v_mul_lo_u32 v21, s18, v18
	v_mad_u64_u32 v[17:18], s[2:3], s18, v17, 0
	v_add3_u32 v14, v18, v21, v14
                                        ; implicit-def: $vgpr21_vgpr22
	s_waitcnt vmcnt(0)
	v_ashrrev_i32_e32 v20, 31, v19
	v_cmp_ne_u64_e32 vcc, s[8:9], v[19:20]
	s_and_saveexec_b64 s[2:3], vcc
	s_xor_b64 s[2:3], exec, s[2:3]
; %bb.73:                               ;   in Loop: Header=BB0_43 Depth=1
	v_add_co_u32_e32 v21, vcc, v17, v19
	v_addc_co_u32_e32 v22, vcc, v14, v20, vcc
                                        ; implicit-def: $vgpr17_vgpr18
                                        ; implicit-def: $vgpr14
; %bb.74:                               ;   in Loop: Header=BB0_43 Depth=1
	s_andn2_saveexec_b64 s[2:3], s[2:3]
	s_cbranch_execz .LBB0_41
; %bb.75:                               ;   in Loop: Header=BB0_43 Depth=1
	v_mov_b32_e32 v18, s33
	v_add_co_u32_e32 v21, vcc, s31, v17
	v_addc_co_u32_e32 v22, vcc, v18, v14, vcc
	s_branch .LBB0_41
.LBB0_76:
	s_or_b64 exec, exec, s[16:17]
.LBB0_77:
	s_or_b64 exec, exec, s[6:7]
	v_max_f64 v[1:2], v[11:12], v[11:12]
	v_max_f64 v[1:2], v[1:2], -1.0
	v_cmp_gt_f64_e32 vcc, v[9:10], v[1:2]
	v_cndmask_b32_e32 v2, v2, v10, vcc
	v_cndmask_b32_e32 v1, v1, v9, vcc
	v_cmp_gt_f64_e64 s[0:1], v[7:8], v[1:2]
	v_cndmask_b32_e64 v9, 1, 2, vcc
	v_cndmask_b32_e64 v8, v2, v8, s[0:1]
	v_cndmask_b32_e64 v7, v1, v7, s[0:1]
	v_cmp_gt_f64_e64 s[2:3], v[5:6], v[7:8]
	v_ashrrev_i32_e32 v1, 31, v0
	v_lshlrev_b64 v[0:1], 2, v[0:1]
	v_cndmask_b32_e64 v9, v9, 3, s[0:1]
	v_mov_b32_e32 v2, s25
	v_cndmask_b32_e64 v6, v8, v6, s[2:3]
	v_cndmask_b32_e64 v5, v7, v5, s[2:3]
	v_cmp_ngt_f64_e32 vcc, v[3:4], v[5:6]
	v_cndmask_b32_e64 v7, v9, 4, s[2:3]
	v_cndmask_b32_e32 v3, 5, v7, vcc
	v_add_co_u32_e32 v0, vcc, s24, v0
	v_addc_co_u32_e32 v1, vcc, v2, v1, vcc
	global_store_dword v[0:1], v3, off
.LBB0_78:
	s_endpgm
	.section	.rodata,"a",@progbits
	.p2align	6, 0x0
	.amdhsa_kernel _Z6lookupPKiPKdS0_PK16NuclideGridPointPiS2_S0_illiii
		.amdhsa_group_segment_fixed_size 0
		.amdhsa_private_segment_fixed_size 0
		.amdhsa_kernarg_size 352
		.amdhsa_user_sgpr_count 6
		.amdhsa_user_sgpr_private_segment_buffer 1
		.amdhsa_user_sgpr_dispatch_ptr 0
		.amdhsa_user_sgpr_queue_ptr 0
		.amdhsa_user_sgpr_kernarg_segment_ptr 1
		.amdhsa_user_sgpr_dispatch_id 0
		.amdhsa_user_sgpr_flat_scratch_init 0
		.amdhsa_user_sgpr_private_segment_size 0
		.amdhsa_uses_dynamic_stack 0
		.amdhsa_system_sgpr_private_segment_wavefront_offset 0
		.amdhsa_system_sgpr_workgroup_id_x 1
		.amdhsa_system_sgpr_workgroup_id_y 0
		.amdhsa_system_sgpr_workgroup_id_z 0
		.amdhsa_system_sgpr_workgroup_info 0
		.amdhsa_system_vgpr_workitem_id 0
		.amdhsa_next_free_vgpr 53
		.amdhsa_next_free_sgpr 40
		.amdhsa_reserve_vcc 1
		.amdhsa_reserve_flat_scratch 0
		.amdhsa_float_round_mode_32 0
		.amdhsa_float_round_mode_16_64 0
		.amdhsa_float_denorm_mode_32 3
		.amdhsa_float_denorm_mode_16_64 3
		.amdhsa_dx10_clamp 1
		.amdhsa_ieee_mode 1
		.amdhsa_fp16_overflow 0
		.amdhsa_exception_fp_ieee_invalid_op 0
		.amdhsa_exception_fp_denorm_src 0
		.amdhsa_exception_fp_ieee_div_zero 0
		.amdhsa_exception_fp_ieee_overflow 0
		.amdhsa_exception_fp_ieee_underflow 0
		.amdhsa_exception_fp_ieee_inexact 0
		.amdhsa_exception_int_div_zero 0
	.end_amdhsa_kernel
	.text
.Lfunc_end0:
	.size	_Z6lookupPKiPKdS0_PK16NuclideGridPointPiS2_S0_illiii, .Lfunc_end0-_Z6lookupPKiPKdS0_PK16NuclideGridPointPiS2_S0_illiii
                                        ; -- End function
	.set _Z6lookupPKiPKdS0_PK16NuclideGridPointPiS2_S0_illiii.num_vgpr, 53
	.set _Z6lookupPKiPKdS0_PK16NuclideGridPointPiS2_S0_illiii.num_agpr, 0
	.set _Z6lookupPKiPKdS0_PK16NuclideGridPointPiS2_S0_illiii.numbered_sgpr, 40
	.set _Z6lookupPKiPKdS0_PK16NuclideGridPointPiS2_S0_illiii.num_named_barrier, 0
	.set _Z6lookupPKiPKdS0_PK16NuclideGridPointPiS2_S0_illiii.private_seg_size, 0
	.set _Z6lookupPKiPKdS0_PK16NuclideGridPointPiS2_S0_illiii.uses_vcc, 1
	.set _Z6lookupPKiPKdS0_PK16NuclideGridPointPiS2_S0_illiii.uses_flat_scratch, 0
	.set _Z6lookupPKiPKdS0_PK16NuclideGridPointPiS2_S0_illiii.has_dyn_sized_stack, 0
	.set _Z6lookupPKiPKdS0_PK16NuclideGridPointPiS2_S0_illiii.has_recursion, 0
	.set _Z6lookupPKiPKdS0_PK16NuclideGridPointPiS2_S0_illiii.has_indirect_call, 0
	.section	.AMDGPU.csdata,"",@progbits
; Kernel info:
; codeLenInByte = 3716
; TotalNumSgprs: 44
; NumVgprs: 53
; ScratchSize: 0
; MemoryBound: 0
; FloatMode: 240
; IeeeMode: 1
; LDSByteSize: 0 bytes/workgroup (compile time only)
; SGPRBlocks: 5
; VGPRBlocks: 13
; NumSGPRsForWavesPerEU: 44
; NumVGPRsForWavesPerEU: 53
; Occupancy: 4
; WaveLimiterHint : 1
; COMPUTE_PGM_RSRC2:SCRATCH_EN: 0
; COMPUTE_PGM_RSRC2:USER_SGPR: 6
; COMPUTE_PGM_RSRC2:TRAP_HANDLER: 0
; COMPUTE_PGM_RSRC2:TGID_X_EN: 1
; COMPUTE_PGM_RSRC2:TGID_Y_EN: 0
; COMPUTE_PGM_RSRC2:TGID_Z_EN: 0
; COMPUTE_PGM_RSRC2:TIDIG_COMP_CNT: 0
	.section	.AMDGPU.gpr_maximums,"",@progbits
	.set amdgpu.max_num_vgpr, 0
	.set amdgpu.max_num_agpr, 0
	.set amdgpu.max_num_sgpr, 0
	.section	.AMDGPU.csdata,"",@progbits
	.type	__hip_cuid_fd4a0deacc30b043,@object ; @__hip_cuid_fd4a0deacc30b043
	.section	.bss,"aw",@nobits
	.globl	__hip_cuid_fd4a0deacc30b043
__hip_cuid_fd4a0deacc30b043:
	.byte	0                               ; 0x0
	.size	__hip_cuid_fd4a0deacc30b043, 1

	.ident	"AMD clang version 22.0.0git (https://github.com/RadeonOpenCompute/llvm-project roc-7.2.4 26084 f58b06dce1f9c15707c5f808fd002e18c2accf7e)"
	.section	".note.GNU-stack","",@progbits
	.addrsig
	.addrsig_sym __hip_cuid_fd4a0deacc30b043
	.amdgpu_metadata
---
amdhsa.kernels:
  - .args:
      - .actual_access:  read_only
        .address_space:  global
        .offset:         0
        .size:           8
        .value_kind:     global_buffer
      - .actual_access:  read_only
        .address_space:  global
        .offset:         8
        .size:           8
        .value_kind:     global_buffer
      - .actual_access:  read_only
        .address_space:  global
        .offset:         16
        .size:           8
        .value_kind:     global_buffer
      - .actual_access:  read_only
        .address_space:  global
        .offset:         24
        .size:           8
        .value_kind:     global_buffer
      - .actual_access:  write_only
        .address_space:  global
        .offset:         32
        .size:           8
        .value_kind:     global_buffer
      - .actual_access:  read_only
        .address_space:  global
        .offset:         40
        .size:           8
        .value_kind:     global_buffer
      - .actual_access:  read_only
        .address_space:  global
        .offset:         48
        .size:           8
        .value_kind:     global_buffer
      - .offset:         56
        .size:           4
        .value_kind:     by_value
      - .offset:         64
        .size:           8
        .value_kind:     by_value
      - .offset:         72
        .size:           8
        .value_kind:     by_value
      - .offset:         80
        .size:           4
        .value_kind:     by_value
      - .offset:         84
        .size:           4
        .value_kind:     by_value
      - .offset:         88
        .size:           4
        .value_kind:     by_value
      - .offset:         96
        .size:           4
        .value_kind:     hidden_block_count_x
      - .offset:         100
        .size:           4
        .value_kind:     hidden_block_count_y
      - .offset:         104
        .size:           4
        .value_kind:     hidden_block_count_z
      - .offset:         108
        .size:           2
        .value_kind:     hidden_group_size_x
      - .offset:         110
        .size:           2
        .value_kind:     hidden_group_size_y
      - .offset:         112
        .size:           2
        .value_kind:     hidden_group_size_z
      - .offset:         114
        .size:           2
        .value_kind:     hidden_remainder_x
      - .offset:         116
        .size:           2
        .value_kind:     hidden_remainder_y
      - .offset:         118
        .size:           2
        .value_kind:     hidden_remainder_z
      - .offset:         136
        .size:           8
        .value_kind:     hidden_global_offset_x
      - .offset:         144
        .size:           8
        .value_kind:     hidden_global_offset_y
      - .offset:         152
        .size:           8
        .value_kind:     hidden_global_offset_z
      - .offset:         160
        .size:           2
        .value_kind:     hidden_grid_dims
    .group_segment_fixed_size: 0
    .kernarg_segment_align: 8
    .kernarg_segment_size: 352
    .language:       OpenCL C
    .language_version:
      - 2
      - 0
    .max_flat_workgroup_size: 1024
    .name:           _Z6lookupPKiPKdS0_PK16NuclideGridPointPiS2_S0_illiii
    .private_segment_fixed_size: 0
    .sgpr_count:     44
    .sgpr_spill_count: 0
    .symbol:         _Z6lookupPKiPKdS0_PK16NuclideGridPointPiS2_S0_illiii.kd
    .uniform_work_group_size: 1
    .uses_dynamic_stack: false
    .vgpr_count:     53
    .vgpr_spill_count: 0
    .wavefront_size: 64
amdhsa.target:   amdgcn-amd-amdhsa--gfx906
amdhsa.version:
  - 1
  - 2
...

	.end_amdgpu_metadata
